;; amdgpu-corpus repo=ROCm/rocFFT kind=compiled arch=gfx950 opt=O3
	.text
	.amdgcn_target "amdgcn-amd-amdhsa--gfx950"
	.amdhsa_code_object_version 6
	.protected	bluestein_single_back_len980_dim1_sp_op_CI_CI ; -- Begin function bluestein_single_back_len980_dim1_sp_op_CI_CI
	.globl	bluestein_single_back_len980_dim1_sp_op_CI_CI
	.p2align	8
	.type	bluestein_single_back_len980_dim1_sp_op_CI_CI,@function
bluestein_single_back_len980_dim1_sp_op_CI_CI: ; @bluestein_single_back_len980_dim1_sp_op_CI_CI
; %bb.0:
	s_load_dwordx4 s[8:11], s[0:1], 0x28
	v_mul_u32_u24_e32 v1, 0x14f, v0
	v_add_u32_sdwa v46, s2, v1 dst_sel:DWORD dst_unused:UNUSED_PAD src0_sel:DWORD src1_sel:WORD_1
	v_mov_b32_e32 v47, 0
	s_waitcnt lgkmcnt(0)
	v_cmp_gt_u64_e32 vcc, s[8:9], v[46:47]
	s_and_saveexec_b64 s[2:3], vcc
	s_cbranch_execz .LBB0_31
; %bb.1:
	s_load_dwordx2 s[18:19], s[0:1], 0x0
	s_load_dwordx2 s[16:17], s[0:1], 0x38
	s_movk_i32 s2, 0xc4
	v_mul_lo_u16_sdwa v1, v1, s2 dst_sel:DWORD dst_unused:UNUSED_PAD src0_sel:WORD_1 src1_sel:DWORD
	v_sub_u16_e32 v47, v0, v1
	s_movk_i32 s2, 0x8b
	s_movk_i32 s4, 0x8c
	v_cmp_lt_u16_e64 s[2:3], s2, v47
	v_cmp_gt_u16_e64 s[8:9], s4, v47
	v_lshlrev_b32_e32 v44, 3, v47
	s_and_saveexec_b64 s[12:13], s[8:9]
	s_cbranch_execz .LBB0_3
; %bb.2:
	s_load_dwordx2 s[4:5], s[0:1], 0x18
	v_mov_b32_e32 v0, s10
	v_mov_b32_e32 v1, s11
	;; [unrolled: 1-line block ×4, first 2 shown]
	s_waitcnt lgkmcnt(0)
	s_load_dwordx4 s[4:7], s[4:5], 0x0
	s_waitcnt lgkmcnt(0)
	v_mad_u64_u32 v[2:3], s[10:11], s6, v46, 0
	v_mad_u64_u32 v[4:5], s[10:11], s4, v47, 0
	v_mov_b32_e32 v6, v3
	v_mov_b32_e32 v8, v5
	v_mad_u64_u32 v[6:7], s[6:7], s7, v46, v[6:7]
	v_mov_b32_e32 v3, v6
	v_mad_u64_u32 v[6:7], s[6:7], s5, v47, v[8:9]
	v_mov_b32_e32 v5, v6
	v_lshl_add_u64 v[0:1], v[2:3], 3, v[0:1]
	v_lshl_add_u64 v[0:1], v[4:5], 3, v[0:1]
	global_load_dwordx2 v[2:3], v[0:1], off
	v_mad_u64_u32 v[0:1], s[6:7], s4, v28, v[0:1]
	s_mul_i32 s10, s5, 0x460
	v_add_u32_e32 v1, s10, v1
	global_load_dwordx2 v[8:9], v[0:1], off
	v_mad_u64_u32 v[0:1], s[6:7], s4, v28, v[0:1]
	v_add_u32_e32 v1, s10, v1
	v_mad_u64_u32 v[10:11], s[6:7], s4, v28, v[0:1]
	global_load_dwordx2 v[6:7], v44, s[18:19]
	v_add_u32_e32 v11, s10, v11
	v_mad_u64_u32 v[18:19], s[6:7], s4, v28, v[10:11]
	v_lshl_add_u64 v[4:5], s[18:19], 0, v[44:45]
	v_add_u32_e32 v19, s10, v19
	s_movk_i32 s5, 0x1000
	global_load_dwordx2 v[12:13], v44, s[18:19] offset:1120
	global_load_dwordx2 v[14:15], v44, s[18:19] offset:2240
	;; [unrolled: 1-line block ×3, first 2 shown]
	global_load_dwordx2 v[20:21], v[0:1], off
	global_load_dwordx2 v[22:23], v[10:11], off
	;; [unrolled: 1-line block ×3, first 2 shown]
	v_add_co_u32_e32 v0, vcc, s5, v4
	v_mad_u64_u32 v[10:11], s[6:7], s4, v28, v[18:19]
	s_nop 0
	v_addc_co_u32_e32 v1, vcc, 0, v5, vcc
	v_add_u32_e32 v11, s10, v11
	global_load_dwordx2 v[4:5], v[0:1], off offset:384
	global_load_dwordx2 v[18:19], v[10:11], off
	global_load_dwordx2 v[26:27], v[0:1], off offset:1504
	v_mad_u64_u32 v[10:11], s[4:5], s4, v28, v[10:11]
	v_add_u32_e32 v11, s10, v11
	global_load_dwordx2 v[28:29], v[0:1], off offset:2624
	global_load_dwordx2 v[30:31], v[10:11], off
	v_add_u32_e32 v10, 0x800, v44
	v_add_u32_e32 v11, 0x1000, v44
	s_waitcnt vmcnt(11)
	v_mul_f32_e32 v0, v3, v7
	v_mul_f32_e32 v1, v2, v7
	v_fmac_f32_e32 v0, v2, v6
	v_fma_f32 v1, v3, v6, -v1
	s_waitcnt vmcnt(10)
	v_mul_f32_e32 v2, v9, v13
	v_mul_f32_e32 v3, v8, v13
	v_fmac_f32_e32 v2, v8, v12
	v_fma_f32 v3, v9, v12, -v3
	ds_write2_b64 v44, v[0:1], v[2:3] offset1:140
	s_waitcnt vmcnt(7)
	v_mul_f32_e32 v0, v21, v15
	v_mul_f32_e32 v1, v20, v15
	s_waitcnt vmcnt(6)
	v_mul_f32_e32 v2, v23, v17
	v_mul_f32_e32 v3, v22, v17
	v_fmac_f32_e32 v0, v20, v14
	v_fma_f32 v1, v21, v14, -v1
	v_fmac_f32_e32 v2, v22, v16
	v_fma_f32 v3, v23, v16, -v3
	ds_write2_b64 v10, v[0:1], v[2:3] offset0:24 offset1:164
	s_waitcnt vmcnt(4)
	v_mul_f32_e32 v0, v25, v5
	v_mul_f32_e32 v1, v24, v5
	s_waitcnt vmcnt(2)
	v_mul_f32_e32 v2, v19, v27
	v_mul_f32_e32 v3, v18, v27
	v_fmac_f32_e32 v0, v24, v4
	v_fma_f32 v1, v25, v4, -v1
	v_fmac_f32_e32 v2, v18, v26
	v_fma_f32 v3, v19, v26, -v3
	ds_write2_b64 v11, v[0:1], v[2:3] offset0:48 offset1:188
	s_waitcnt vmcnt(0)
	v_mul_f32_e32 v0, v31, v29
	v_mul_f32_e32 v1, v30, v29
	v_fmac_f32_e32 v0, v30, v28
	v_fma_f32 v1, v31, v28, -v1
	ds_write_b64 v44, v[0:1] offset:6720
.LBB0_3:
	s_or_b64 exec, exec, s[12:13]
	s_load_dwordx2 s[4:5], s[0:1], 0x20
	s_load_dwordx2 s[10:11], s[0:1], 0x8
	v_mov_b64_e32 v[2:3], 0
	v_mov_b64_e32 v[4:5], v[2:3]
	;; [unrolled: 1-line block ×4, first 2 shown]
	s_waitcnt lgkmcnt(0)
	s_barrier
	s_waitcnt lgkmcnt(0)
                                        ; implicit-def: $vgpr12
	s_and_saveexec_b64 s[0:1], s[8:9]
	s_cbranch_execz .LBB0_5
; %bb.4:
	v_add_u32_e32 v4, 0x800, v44
	v_add_u32_e32 v8, 0x1000, v44
	ds_read2_b64 v[0:3], v44 offset1:140
	ds_read2_b64 v[4:7], v4 offset0:24 offset1:164
	ds_read2_b64 v[8:11], v8 offset0:48 offset1:188
	ds_read_b64 v[12:13], v44 offset:6720
.LBB0_5:
	s_or_b64 exec, exec, s[0:1]
	s_waitcnt lgkmcnt(0)
	v_pk_add_f32 v[14:15], v[12:13], v[2:3]
	v_pk_add_f32 v[16:17], v[10:11], v[4:5]
	;; [unrolled: 1-line block ×4, first 2 shown]
	v_pk_add_f32 v[2:3], v[2:3], v[12:13] neg_lo:[0,1] neg_hi:[0,1]
	v_pk_add_f32 v[12:13], v[4:5], v[10:11] neg_lo:[0,1] neg_hi:[0,1]
	v_pk_add_f32 v[22:23], v[8:9], v[6:7] neg_lo:[0,1] neg_hi:[0,1]
	v_pk_add_f32 v[20:21], v[20:21], v[18:19]
	v_pk_add_f32 v[4:5], v[16:17], v[14:15] neg_lo:[0,1] neg_hi:[0,1]
	v_pk_add_f32 v[14:15], v[14:15], v[18:19] neg_lo:[0,1] neg_hi:[0,1]
	v_pk_add_f32 v[6:7], v[12:13], v[22:23]
	s_mov_b32 s12, 0x3f4a47b2
	s_mov_b32 s6, 0x3f3bfb3b
	v_pk_add_f32 v[0:1], v[20:21], v[0:1]
	v_pk_add_f32 v[24:25], v[2:3], v[22:23] neg_lo:[0,1] neg_hi:[0,1]
	v_pk_add_f32 v[10:11], v[12:13], v[2:3] neg_lo:[0,1] neg_hi:[0,1]
	v_pk_add_f32 v[8:9], v[2:3], v[6:7]
	s_mov_b32 s0, 0xbf955555
	v_pk_mul_f32 v[26:27], v[14:15], s[12:13] op_sel_hi:[1,0]
	v_pk_mul_f32 v[2:3], v[4:5], s[6:7] op_sel_hi:[1,0]
	s_mov_b32 s20, 0x3f5ff5aa
	v_pk_mul_f32 v[6:7], v[10:11], s[20:21] op_sel_hi:[1,0]
	v_pk_fma_f32 v[4:5], v[20:21], s[0:1], v[0:1] op_sel_hi:[1,0,1]
	v_pk_add_f32 v[10:11], v[26:27], v[2:3] op_sel:[1,1] op_sel_hi:[0,0] neg_lo:[1,1] neg_hi:[1,1]
	v_pk_add_f32 v[26:27], v[10:11], v[4:5] op_sel:[0,1] op_sel_hi:[1,0]
	v_pk_add_f32 v[10:11], v[18:19], v[16:17] neg_lo:[0,1] neg_hi:[0,1]
	s_mov_b32 s0, 0x3d64c772
	v_pk_mul_f32 v[10:11], v[10:11], s[0:1] op_sel_hi:[1,0]
	v_pk_add_f32 v[12:13], v[22:23], v[12:13] neg_lo:[0,1] neg_hi:[0,1]
	s_mov_b32 s0, 0xbf08b237
	s_mov_b32 s14, 0x3eae86e6
	v_pk_mul_f32 v[12:13], v[12:13], s[0:1] op_sel_hi:[1,0]
	s_mov_b32 s6, 0x3ee1c552
	v_pk_fma_f32 v[20:21], v[24:25], s[14:15], v[6:7] op_sel_hi:[1,0,1] neg_lo:[1,0,1] neg_hi:[1,0,1]
	v_pk_fma_f32 v[14:15], v[14:15], s[12:13], v[10:11] op_sel_hi:[1,0,1]
	v_pk_fma_f32 v[16:17], v[24:25], s[14:15], v[12:13] op_sel_hi:[1,0,1]
	v_pk_add_f32 v[14:15], v[14:15], v[4:5]
	v_pk_fma_f32 v[16:17], v[8:9], s[6:7], v[16:17] op_sel_hi:[1,0,1]
	v_pk_fma_f32 v[18:19], v[8:9], s[6:7], v[20:21] op_sel_hi:[1,0,1]
	v_pk_add_f32 v[32:33], v[14:15], v[16:17] op_sel:[0,1] op_sel_hi:[1,0] neg_lo:[0,1] neg_hi:[0,1]
	v_pk_add_f32 v[36:37], v[26:27], v[18:19] neg_lo:[0,1] neg_hi:[0,1]
	v_pk_add_f32 v[26:27], v[26:27], v[18:19]
	v_pk_add_f32 v[34:35], v[14:15], v[16:17] op_sel:[0,1] op_sel_hi:[1,0]
	v_mul_lo_u16_e32 v80, 7, v47
	s_barrier
	s_and_saveexec_b64 s[0:1], s[8:9]
	s_cbranch_execz .LBB0_7
; %bb.6:
	v_lshlrev_b32_e32 v16, 3, v80
	v_mov_b32_e32 v14, v34
	v_mov_b32_e32 v15, v33
	v_pk_mul_f32 v[8:9], v[8:9], s[6:7] op_sel_hi:[1,0]
	ds_write2_b64 v16, v[0:1], v[14:15] offset1:1
	v_pk_add_f32 v[0:1], v[6:7], v[12:13] neg_lo:[0,1] neg_hi:[0,1]
	v_pk_add_f32 v[2:3], v[2:3], v[10:11] neg_lo:[0,1] neg_hi:[0,1]
	v_pk_add_f32 v[0:1], v[0:1], v[8:9]
	v_pk_add_f32 v[2:3], v[2:3], v[4:5]
	v_mov_b32_e32 v33, v35
	v_pk_add_f32 v[4:5], v[2:3], v[0:1] op_sel:[0,1] op_sel_hi:[1,0] neg_lo:[0,1] neg_hi:[0,1]
	v_pk_add_f32 v[0:1], v[2:3], v[0:1] op_sel:[0,1] op_sel_hi:[1,0]
	v_mov_b32_e32 v2, v27
	v_mov_b32_e32 v3, v36
	;; [unrolled: 1-line block ×4, first 2 shown]
	ds_write2_b64 v16, v[2:3], v[6:7] offset0:2 offset1:3
	v_mov_b32_e32 v1, v5
	v_mov_b32_e32 v2, v37
	;; [unrolled: 1-line block ×3, first 2 shown]
	ds_write2_b64 v16, v[0:1], v[2:3] offset0:4 offset1:5
	ds_write_b64 v16, v[32:33] offset:48
.LBB0_7:
	s_or_b64 exec, exec, s[0:1]
	v_mov_b32_e32 v0, 37
	v_mul_lo_u16_sdwa v0, v47, v0 dst_sel:DWORD dst_unused:UNUSED_PAD src0_sel:BYTE_0 src1_sel:DWORD
	v_sub_u16_sdwa v1, v47, v0 dst_sel:DWORD dst_unused:UNUSED_PAD src0_sel:DWORD src1_sel:BYTE_1
	v_lshrrev_b16_e32 v1, 1, v1
	v_and_b32_e32 v1, 0x7f, v1
	v_add_u16_sdwa v0, v1, v0 dst_sel:DWORD dst_unused:UNUSED_PAD src0_sel:DWORD src1_sel:BYTE_1
	v_lshrrev_b16_e32 v18, 2, v0
	v_mul_lo_u16_e32 v0, 7, v18
	v_sub_u16_e32 v0, v47, v0
	v_and_b32_e32 v19, 0xff, v0
	v_lshlrev_b32_e32 v8, 5, v19
	s_load_dwordx4 s[12:15], s[4:5], 0x0
	s_waitcnt lgkmcnt(0)
	s_barrier
	global_load_dwordx4 v[0:3], v8, s[10:11] offset:16
	global_load_dwordx4 v[4:7], v8, s[10:11]
	ds_read_b64 v[16:17], v44 offset:6272
	ds_read2_b64 v[8:11], v44 offset1:196
	v_add_u32_e32 v12, 0xc00, v44
	ds_read2_b64 v[12:15], v12 offset0:8 offset1:204
	v_mul_u32_u24_e32 v18, 35, v18
	v_add_lshl_u32 v81, v18, v19, 3
	s_mov_b32 s0, 0x3f737871
	s_mov_b32 s4, 0x3f167918
	;; [unrolled: 1-line block ×3, first 2 shown]
	s_waitcnt lgkmcnt(0)
	s_barrier
	s_waitcnt vmcnt(1)
	v_mov_b32_e32 v18, v3
	s_waitcnt vmcnt(0)
	v_pk_mul_f32 v[20:21], v[10:11], v[4:5] op_sel:[0,1]
	v_mov_b32_e32 v22, v7
	v_pk_mul_f32 v[24:25], v[14:15], v[0:1] op_sel:[0,1]
	v_pk_mul_f32 v[18:19], v[16:17], v[18:19] op_sel_hi:[1,0]
	v_pk_fma_f32 v[28:29], v[10:11], v[4:5], v[20:21] op_sel:[0,0,1] op_sel_hi:[1,1,0] neg_lo:[0,0,1] neg_hi:[0,0,1]
	v_pk_fma_f32 v[10:11], v[10:11], v[4:5], v[20:21] op_sel:[0,0,1] op_sel_hi:[1,0,0]
	v_pk_mul_f32 v[20:21], v[12:13], v[22:23] op_sel_hi:[1,0]
	v_pk_fma_f32 v[22:23], v[14:15], v[0:1], v[24:25] op_sel:[0,0,1] op_sel_hi:[1,1,0] neg_lo:[0,0,1] neg_hi:[0,0,1]
	v_pk_fma_f32 v[14:15], v[14:15], v[0:1], v[24:25] op_sel:[0,0,1] op_sel_hi:[1,0,0]
	v_pk_fma_f32 v[24:25], v[16:17], v[2:3], v[18:19] op_sel:[0,0,1] op_sel_hi:[1,0,0]
	v_pk_fma_f32 v[16:17], v[16:17], v[2:3], v[18:19] op_sel:[0,0,1] op_sel_hi:[1,0,0] neg_lo:[0,0,1] neg_hi:[0,0,1]
	v_mov_b32_e32 v29, v11
	v_pk_fma_f32 v[10:11], v[12:13], v[6:7], v[20:21] op_sel:[0,0,1] op_sel_hi:[1,1,0] neg_lo:[0,0,1] neg_hi:[0,0,1]
	v_pk_fma_f32 v[12:13], v[12:13], v[6:7], v[20:21] op_sel:[0,0,1] op_sel_hi:[1,0,0]
	v_mov_b32_e32 v23, v15
	v_mov_b32_e32 v17, v25
	;; [unrolled: 1-line block ×3, first 2 shown]
	v_pk_add_f32 v[12:13], v[8:9], v[28:29]
	v_pk_add_f32 v[18:19], v[28:29], v[16:17] neg_lo:[0,1] neg_hi:[0,1]
	v_pk_add_f32 v[20:21], v[28:29], v[16:17]
	v_pk_add_f32 v[12:13], v[12:13], v[10:11]
	;; [unrolled: 1-line block ×3, first 2 shown]
	v_pk_add_f32 v[14:15], v[10:11], v[22:23] neg_lo:[0,1] neg_hi:[0,1]
	v_pk_fma_f32 v[40:41], v[20:21], 0.5, v[8:9] op_sel_hi:[1,0,1] neg_lo:[1,0,0] neg_hi:[1,0,0]
	v_pk_mul_f32 v[42:43], v[18:19], s[4:5] op_sel_hi:[1,0]
	v_pk_add_f32 v[12:13], v[12:13], v[22:23]
	v_pk_fma_f32 v[8:9], v[38:39], 0.5, v[8:9] op_sel_hi:[1,0,1] neg_lo:[1,0,0] neg_hi:[1,0,0]
	v_pk_mul_f32 v[18:19], v[18:19], s[0:1] op_sel_hi:[1,0]
	v_pk_add_f32 v[24:25], v[10:11], v[28:29] neg_lo:[0,1] neg_hi:[0,1]
	v_pk_add_f32 v[30:31], v[22:23], v[16:17] neg_lo:[0,1] neg_hi:[0,1]
	;; [unrolled: 1-line block ×4, first 2 shown]
	v_pk_add_f32 v[20:21], v[12:13], v[16:17]
	v_pk_add_f32 v[12:13], v[8:9], v[18:19] op_sel:[0,1] op_sel_hi:[1,0]
	v_pk_add_f32 v[8:9], v[8:9], v[18:19] op_sel:[0,1] op_sel_hi:[1,0] neg_lo:[0,1] neg_hi:[0,1]
	v_pk_fma_f32 v[16:17], v[14:15], s[0:1], v[40:41] op_sel:[1,0,0] op_sel_hi:[0,0,1] neg_lo:[1,0,0] neg_hi:[1,0,0]
	v_pk_fma_f32 v[18:19], v[14:15], s[0:1], v[40:41] op_sel:[1,0,0] op_sel_hi:[0,0,1]
	v_pk_fma_f32 v[8:9], v[14:15], s[4:5], v[8:9] op_sel:[1,0,0] op_sel_hi:[0,0,1] neg_lo:[1,0,0] neg_hi:[1,0,0]
	v_pk_fma_f32 v[12:13], v[14:15], s[4:5], v[12:13] op_sel:[1,0,0] op_sel_hi:[0,0,1]
	v_pk_add_f32 v[14:15], v[18:19], v[42:43] op_sel:[0,1] op_sel_hi:[1,0] neg_lo:[0,1] neg_hi:[0,1]
	v_pk_add_f32 v[16:17], v[16:17], v[42:43] op_sel:[0,1] op_sel_hi:[1,0]
	v_pk_add_f32 v[30:31], v[24:25], v[30:31]
	v_pk_add_f32 v[10:11], v[10:11], v[28:29]
	v_mov_b32_e32 v18, v12
	v_mov_b32_e32 v19, v9
	;; [unrolled: 1-line block ×6, first 2 shown]
	v_pk_fma_f32 v[22:23], v[10:11], s[6:7], v[18:19] op_sel_hi:[1,0,1]
	v_pk_fma_f32 v[24:25], v[10:11], s[6:7], v[8:9] op_sel_hi:[1,0,1]
	;; [unrolled: 1-line block ×4, first 2 shown]
	ds_write2_b64 v81, v[20:21], v[22:23] offset1:7
	ds_write2_b64 v81, v[28:29], v[30:31] offset0:14 offset1:21
	ds_write_b64 v81, v[24:25] offset:224
	s_waitcnt lgkmcnt(0)
	s_barrier
	s_and_saveexec_b64 s[0:1], s[8:9]
	s_cbranch_execz .LBB0_9
; %bb.8:
	v_add_u32_e32 v8, 0x1000, v44
	ds_read2_b64 v[20:23], v44 offset1:140
	ds_read_b64 v[32:33], v44 offset:6720
	ds_read2_b64 v[24:27], v8 offset0:48 offset1:188
	v_add_u32_e32 v8, 0x800, v44
	ds_read2_b64 v[28:31], v8 offset0:24 offset1:164
	s_waitcnt lgkmcnt(2)
	v_mov_b32_e32 v35, v33
	s_waitcnt lgkmcnt(1)
	v_mov_b32_e32 v37, v26
	v_mov_b32_e32 v26, v27
.LBB0_9:
	s_or_b64 exec, exec, s[0:1]
	s_movk_i32 s0, 0xeb
	v_mul_lo_u16_sdwa v8, v47, s0 dst_sel:DWORD dst_unused:UNUSED_PAD src0_sel:BYTE_0 src1_sel:DWORD
	v_lshrrev_b16_e32 v78, 13, v8
	v_mul_lo_u16_e32 v8, 35, v78
	v_sub_u16_e32 v8, v47, v8
	v_and_b32_e32 v79, 0xff, v8
	v_mad_u64_u32 v[38:39], s[0:1], v79, 48, s[10:11]
	global_load_dwordx4 v[16:19], v[38:39], off offset:224
	global_load_dwordx4 v[12:15], v[38:39], off offset:240
	;; [unrolled: 1-line block ×3, first 2 shown]
	v_mov_b32_e32 v36, v35
	v_mov_b32_e32 v34, v37
	s_mov_b32 s20, 0x3f3bfb3b
	s_mov_b32 s6, 0x3d64c772
	;; [unrolled: 1-line block ×8, first 2 shown]
	s_waitcnt lgkmcnt(0)
	s_barrier
	s_waitcnt vmcnt(2)
	v_pk_mul_f32 v[38:39], v[22:23], v[16:17] op_sel:[1,0]
	v_pk_mul_f32 v[40:41], v[28:29], v[18:19] op_sel:[1,0]
	s_waitcnt vmcnt(1)
	v_pk_mul_f32 v[42:43], v[30:31], v[12:13] op_sel:[1,0]
	v_pk_mul_f32 v[48:49], v[24:25], v[14:15] op_sel:[1,0]
	s_waitcnt vmcnt(0)
	v_pk_mul_f32 v[26:27], v[26:27], v[8:9] op_sel_hi:[0,1]
	v_pk_mul_f32 v[36:37], v[36:37], v[10:11] op_sel_hi:[0,1]
	v_pk_fma_f32 v[50:51], v[22:23], v[16:17], v[38:39] op_sel:[0,0,1] op_sel_hi:[0,1,0]
	v_pk_fma_f32 v[22:23], v[22:23], v[16:17], v[38:39] op_sel:[0,0,1] op_sel_hi:[0,1,0] neg_lo:[0,0,1] neg_hi:[0,0,1]
	v_pk_fma_f32 v[38:39], v[28:29], v[18:19], v[40:41] op_sel:[0,0,1] op_sel_hi:[0,1,0]
	v_pk_fma_f32 v[28:29], v[28:29], v[18:19], v[40:41] op_sel:[0,0,1] op_sel_hi:[0,1,0] neg_lo:[0,0,1] neg_hi:[0,0,1]
	;; [unrolled: 2-line block ×6, first 2 shown]
	v_mov_b32_e32 v23, v51
	v_mov_b32_e32 v29, v39
	v_mov_b32_e32 v27, v49
	v_mov_b32_e32 v33, v35
	v_mov_b32_e32 v31, v41
	v_mov_b32_e32 v25, v43
	v_pk_add_f32 v[34:35], v[22:23], v[32:33]
	v_pk_add_f32 v[22:23], v[22:23], v[32:33] neg_lo:[0,1] neg_hi:[0,1]
	v_pk_add_f32 v[32:33], v[28:29], v[26:27]
	v_pk_add_f32 v[26:27], v[28:29], v[26:27] neg_lo:[0,1] neg_hi:[0,1]
	;; [unrolled: 2-line block ×4, first 2 shown]
	v_pk_add_f32 v[38:39], v[24:25], v[26:27] op_sel:[1,1] op_sel_hi:[0,0]
	v_mov_b32_e32 v42, v28
	v_mov_b32_e32 v43, v31
	;; [unrolled: 1-line block ×3, first 2 shown]
	v_pk_add_f32 v[34:35], v[34:35], v[28:29] neg_lo:[0,1] neg_hi:[0,1]
	v_pk_add_f32 v[32:33], v[28:29], v[32:33] neg_lo:[0,1] neg_hi:[0,1]
	v_pk_add_f32 v[40:41], v[24:25], v[26:27] op_sel:[1,1] op_sel_hi:[0,0] neg_lo:[0,1] neg_hi:[0,1]
	v_pk_add_f32 v[24:25], v[22:23], v[24:25] op_sel:[1,1] op_sel_hi:[0,0] neg_lo:[0,1] neg_hi:[0,1]
	;; [unrolled: 1-line block ×3, first 2 shown]
	v_pk_add_f32 v[28:29], v[38:39], v[22:23] op_sel:[0,1] op_sel_hi:[1,0]
	v_pk_mul_f32 v[22:23], v[36:37], s[20:21] op_sel_hi:[1,0]
	v_pk_add_f32 v[30:31], v[42:43], v[30:31]
	v_pk_mul_f32 v[32:33], v[32:33], s[6:7] op_sel_hi:[1,0]
	v_pk_mul_f32 v[38:39], v[40:41], s[22:23] op_sel_hi:[1,0]
	;; [unrolled: 1-line block ×3, first 2 shown]
	v_fma_f32 v49, v34, s1, -v22
	v_fma_f32 v51, v35, s1, -v23
	v_pk_add_f32 v[22:23], v[20:21], v[30:31]
	v_fmamk_f32 v48, v34, 0x3f4a47b2, v32
	v_pk_fma_f32 v[36:37], v[36:37], s[20:21], v[32:33] op_sel_hi:[1,0,1] neg_lo:[0,0,1] neg_hi:[0,0,1]
	v_fmac_f32_e32 v33, 0x3f4a47b2, v35
	v_fmamk_f32 v34, v25, 0x3eae86e6, v39
	v_pk_fma_f32 v[26:27], v[26:27], s[24:25], v[38:39] op_sel_hi:[1,0,1] neg_lo:[0,0,1] neg_hi:[0,0,1]
	v_fmac_f32_e32 v38, 0x3eae86e6, v24
	v_fma_f32 v35, v25, s5, -v41
	v_fma_f32 v39, v24, s5, -v40
	v_pk_fma_f32 v[24:25], v[30:31], s[0:1], v[22:23] op_sel_hi:[1,0,1]
	v_pk_mul_f32 v[42:43], v[28:29], s[4:5] op_sel_hi:[1,0]
	v_pk_fma_f32 v[26:27], v[28:29], s[4:5], v[26:27] op_sel_hi:[1,0,1]
	v_mov_b32_e32 v50, v33
	v_pk_add_f32 v[28:29], v[36:37], v[24:25]
	v_pk_add_f32 v[20:21], v[42:43], v[34:35] op_sel:[1,0]
	v_pk_add_f32 v[34:35], v[42:43], v[38:39] op_sel_hi:[0,1]
	v_pk_add_f32 v[30:31], v[50:51], v[24:25] op_sel:[0,1]
	v_pk_add_f32 v[36:37], v[48:49], v[24:25] op_sel_hi:[1,0]
	v_pk_add_f32 v[24:25], v[28:29], v[26:27] neg_lo:[0,1] neg_hi:[0,1]
	v_pk_add_f32 v[26:27], v[28:29], v[26:27]
	v_pk_add_f32 v[32:33], v[36:37], v[34:35] neg_lo:[0,1] neg_hi:[0,1]
	v_pk_add_f32 v[52:53], v[20:21], v[30:31]
	v_mov_b32_e32 v28, v26
	v_mov_b32_e32 v29, v25
	s_and_saveexec_b64 s[0:1], s[8:9]
	s_cbranch_execz .LBB0_11
; %bb.10:
	v_mul_u32_u24_e32 v25, 0xf5, v78
	v_add_lshl_u32 v42, v25, v79, 3
	v_mov_b32_e32 v25, v30
	v_mov_b32_e32 v38, v36
	;; [unrolled: 1-line block ×3, first 2 shown]
	v_pk_add_f32 v[40:41], v[34:35], v[36:37]
	v_pk_add_f32 v[38:39], v[24:25], v[38:39] neg_lo:[0,1] neg_hi:[0,1]
	v_mov_b32_e32 v26, v37
	v_mov_b32_e32 v41, v39
	ds_write2_b64 v42, v[22:23], v[40:41] offset1:35
	v_mov_b32_e32 v22, v35
	v_pk_add_f32 v[22:23], v[22:23], v[26:27]
	v_pk_add_f32 v[20:21], v[30:31], v[20:21] neg_lo:[0,1] neg_hi:[0,1]
	v_mov_b32_e32 v25, v27
	v_mov_b32_e32 v23, v21
	;; [unrolled: 1-line block ×4, first 2 shown]
	ds_write2_b64 v42, v[28:29], v[20:21] offset0:140 offset1:175
	v_mov_b32_e32 v20, v32
	v_mov_b32_e32 v21, v52
	ds_write2_b64 v42, v[22:23], v[24:25] offset0:70 offset1:105
	ds_write_b64 v42, v[20:21] offset:1680
.LBB0_11:
	s_or_b64 exec, exec, s[0:1]
	v_add_u32_e32 v20, 0xf00, v44
	s_waitcnt lgkmcnt(0)
	s_barrier
	ds_read2_b64 v[36:39], v44 offset1:245
	ds_read2_b64 v[40:43], v20 offset0:10 offset1:255
	v_cmp_gt_u16_e64 s[4:5], 49, v47
	v_cmp_lt_u16_e64 s[6:7], 48, v47
	s_and_saveexec_b64 s[0:1], s[6:7]
	s_xor_b64 s[0:1], exec, s[0:1]
	s_andn2_saveexec_b64 s[0:1], s[0:1]
	s_cbranch_execz .LBB0_13
; %bb.12:
	v_add_u32_e32 v21, 0x1540, v44
	v_add_u32_e32 v20, 0x600, v44
	ds_read2_b64 v[32:35], v21 offset0:6 offset1:251
	ds_read2_b64 v[28:31], v20 offset0:4 offset1:249
	s_waitcnt lgkmcnt(1)
	v_mov_b32_e32 v52, v33
	s_waitcnt lgkmcnt(0)
	v_mov_b32_e32 v53, v31
	v_mov_b32_e32 v33, v30
.LBB0_13:
	s_or_b64 exec, exec, s[0:1]
	v_mad_u64_u32 v[20:21], s[0:1], v47, 24, s[10:11]
	global_load_dwordx4 v[24:27], v[20:21], off offset:1904
	global_load_dwordx2 v[50:51], v[20:21], off offset:1920
	v_add_u32_e32 v20, 0xc4, v47
	v_subrev_u32_e32 v21, 49, v47
	v_cndmask_b32_e64 v20, v21, v20, s[4:5]
	v_mul_hi_i32_i24_e32 v21, 24, v20
	v_mul_i32_i24_e32 v20, 24, v20
	v_lshl_add_u64 v[30:31], s[10:11], 0, v[20:21]
	global_load_dwordx4 v[20:23], v[30:31], off offset:1904
	global_load_dwordx2 v[48:49], v[30:31], off offset:1920
	s_waitcnt lgkmcnt(0)
	v_mov_b32_e32 v30, v43
	v_mov_b32_e32 v54, v35
	v_add_u32_e32 v66, 0xf00, v44
	s_waitcnt vmcnt(3)
	v_mov_b32_e32 v56, v27
	v_pk_mul_f32 v[58:59], v[40:41], v[26:27] op_sel:[1,0] op_sel_hi:[0,1]
	s_waitcnt vmcnt(2)
	v_pk_mul_f32 v[60:61], v[42:43], v[50:51]
	v_mov_b32_e32 v62, v51
	v_pk_mul_f32 v[64:65], v[38:39], v[24:25] op_sel:[0,1]
	v_pk_mul_f32 v[56:57], v[40:41], v[56:57] op_sel:[1,0] op_sel_hi:[0,1]
	v_mov_b32_e32 v31, v58
	v_mov_b32_e32 v45, v60
	v_pk_mul_f32 v[58:59], v[42:43], v[62:63]
	v_pk_fma_f32 v[60:61], v[38:39], v[24:25], v[64:65] op_sel:[0,0,1] op_sel_hi:[1,1,0] neg_lo:[0,0,1] neg_hi:[0,0,1]
	v_pk_fma_f32 v[38:39], v[38:39], v[24:25], v[64:65] op_sel:[0,0,1] op_sel_hi:[1,0,0]
	v_pk_fma_f32 v[56:57], v[40:41], v[26:27], v[56:57] neg_lo:[0,0,1] neg_hi:[0,0,1]
	v_pk_fma_f32 v[40:41], v[40:41], v[26:27], v[30:31] op_sel:[1,0,0] op_sel_hi:[0,1,1]
	v_pk_fma_f32 v[42:43], v[42:43], v[50:51], v[44:45] neg_lo:[1,0,0] neg_hi:[1,0,0]
	v_pk_fma_f32 v[30:31], v[30:31], v[50:51], v[58:59]
	s_waitcnt vmcnt(1)
	v_pk_mul_f32 v[58:59], v[32:33], v[20:21] op_sel:[1,0]
	v_pk_mul_f32 v[62:63], v[52:53], v[22:23] op_sel_hi:[0,1]
	s_waitcnt vmcnt(0)
	v_pk_mul_f32 v[64:65], v[34:35], v[48:49] op_sel_hi:[0,1]
	v_mov_b32_e32 v61, v39
	v_mov_b32_e32 v38, v39
	;; [unrolled: 1-line block ×5, first 2 shown]
	v_pk_fma_f32 v[40:41], v[52:53], v[20:21], v[58:59] op_sel:[0,0,1] op_sel_hi:[1,1,0] neg_lo:[1,0,0] neg_hi:[1,0,0]
	v_pk_fma_f32 v[42:43], v[52:53], v[20:21], v[58:59] op_sel:[1,0,1] op_sel_hi:[1,1,0]
	v_pk_fma_f32 v[52:53], v[32:33], v[22:23], v[62:63] op_sel:[0,0,1] op_sel_hi:[0,1,0]
	v_pk_fma_f32 v[32:33], v[32:33], v[22:23], v[62:63] op_sel:[0,0,1] op_sel_hi:[0,1,0] neg_lo:[0,0,1] neg_hi:[0,0,1]
	v_pk_fma_f32 v[34:35], v[34:35], v[48:49], v[64:65] op_sel:[0,0,1] op_sel_hi:[1,1,0] neg_lo:[1,0,0] neg_hi:[1,0,0]
	v_pk_fma_f32 v[54:55], v[54:55], v[48:49], v[64:65] op_sel:[0,0,1] op_sel_hi:[0,1,0]
	v_pk_add_f32 v[56:57], v[36:37], v[56:57] neg_lo:[0,1] neg_hi:[0,1]
	v_pk_add_f32 v[30:31], v[38:39], v[30:31] neg_lo:[0,1] neg_hi:[0,1]
	v_mov_b32_e32 v43, v41
	v_mov_b32_e32 v33, v53
	;; [unrolled: 1-line block ×3, first 2 shown]
	v_pk_fma_f32 v[34:35], v[36:37], 2.0, v[56:57] op_sel_hi:[1,0,1] neg_lo:[0,0,1] neg_hi:[0,0,1]
	v_pk_fma_f32 v[36:37], v[60:61], 2.0, v[30:31] op_sel:[0,0,1] op_sel_hi:[1,0,0] neg_lo:[0,0,1] neg_hi:[0,0,1]
	v_pk_add_f32 v[40:41], v[56:57], v[30:31]
	v_pk_add_f32 v[38:39], v[56:57], v[30:31] neg_lo:[0,1] neg_hi:[0,1]
	v_pk_add_f32 v[52:53], v[28:29], v[32:33] neg_lo:[0,1] neg_hi:[0,1]
	;; [unrolled: 1-line block ×3, first 2 shown]
	v_mov_b32_e32 v39, v41
	v_pk_fma_f32 v[40:41], v[28:29], 2.0, v[52:53] op_sel_hi:[1,0,1] neg_lo:[0,0,1] neg_hi:[0,0,1]
	v_pk_fma_f32 v[28:29], v[42:43], 2.0, v[30:31] op_sel_hi:[1,0,1] neg_lo:[0,0,1] neg_hi:[0,0,1]
	v_pk_add_f32 v[42:43], v[52:53], v[30:31]
	v_pk_add_f32 v[30:31], v[52:53], v[30:31] neg_lo:[0,1] neg_hi:[0,1]
	v_pk_add_f32 v[36:37], v[34:35], v[36:37] neg_lo:[0,1] neg_hi:[0,1]
	v_pk_add_f32 v[28:29], v[40:41], v[28:29] op_sel:[0,1] op_sel_hi:[1,0] neg_lo:[0,1] neg_hi:[0,1]
	v_mov_b32_e32 v31, v43
	v_pk_fma_f32 v[32:33], v[34:35], 2.0, v[36:37] op_sel_hi:[1,0,1] neg_lo:[0,0,1] neg_hi:[0,0,1]
	v_pk_fma_f32 v[34:35], v[56:57], 2.0, v[38:39] op_sel_hi:[1,0,1] neg_lo:[0,0,1] neg_hi:[0,0,1]
	;; [unrolled: 1-line block ×4, first 2 shown]
	ds_write2_b64 v44, v[32:33], v[34:35] offset1:245
	ds_write2_b64 v66, v[36:37], v[38:39] offset0:10 offset1:255
	s_and_saveexec_b64 s[0:1], s[4:5]
	s_cbranch_execz .LBB0_15
; %bb.14:
	v_add_u32_e32 v45, 0x600, v44
	ds_write2_b64 v45, v[40:41], v[42:43] offset0:4 offset1:249
	v_add_u32_e32 v45, 0x1540, v44
	ds_write2_b64 v45, v[28:29], v[30:31] offset0:6 offset1:251
.LBB0_15:
	s_or_b64 exec, exec, s[0:1]
	s_waitcnt lgkmcnt(0)
	s_barrier
	s_and_saveexec_b64 s[0:1], s[8:9]
	s_cbranch_execz .LBB0_17
; %bb.16:
	v_mov_b32_e32 v45, 0
	v_lshl_add_u64 v[52:53], s[18:19], 0, v[44:45]
	v_add_co_u32_e32 v54, vcc, 0x1000, v52
	s_mov_b64 s[10:11], 0x1ea0
	s_nop 0
	v_addc_co_u32_e32 v55, vcc, 0, v53, vcc
	global_load_dwordx2 v[54:55], v[54:55], off offset:3744
	s_movk_i32 s20, 0x3000
	v_lshl_add_u64 v[56:57], v[52:53], 0, s[10:11]
	v_add_co_u32_e32 v52, vcc, s20, v52
	global_load_dwordx2 v[64:65], v[56:57], off offset:1120
	global_load_dwordx2 v[66:67], v[56:57], off offset:2240
	;; [unrolled: 1-line block ×3, first 2 shown]
	v_addc_co_u32_e32 v53, vcc, 0, v53, vcc
	global_load_dwordx2 v[70:71], v[52:53], off offset:32
	global_load_dwordx2 v[72:73], v[52:53], off offset:1152
	;; [unrolled: 1-line block ×3, first 2 shown]
	ds_read_b64 v[52:53], v44
	v_add_u32_e32 v45, 0x400, v44
	v_add_u32_e32 v82, 0xc00, v44
	;; [unrolled: 1-line block ×3, first 2 shown]
	s_waitcnt vmcnt(6) lgkmcnt(0)
	v_mul_f32_e32 v56, v53, v55
	v_mul_f32_e32 v57, v52, v55
	v_fma_f32 v56, v52, v54, -v56
	v_fmac_f32_e32 v57, v53, v54
	ds_write_b64 v44, v[56:57]
	ds_read2_b64 v[52:55], v45 offset0:12 offset1:152
	ds_read2_b64 v[56:59], v82 offset0:36 offset1:176
	;; [unrolled: 1-line block ×3, first 2 shown]
	s_waitcnt vmcnt(5) lgkmcnt(2)
	v_mul_f32_e32 v76, v53, v65
	v_mul_f32_e32 v77, v52, v65
	s_waitcnt vmcnt(4)
	v_mul_f32_e32 v84, v55, v67
	v_mul_f32_e32 v65, v54, v67
	s_waitcnt vmcnt(3) lgkmcnt(1)
	v_mul_f32_e32 v85, v57, v69
	v_mul_f32_e32 v67, v56, v69
	s_waitcnt vmcnt(2)
	v_mul_f32_e32 v86, v59, v71
	v_mul_f32_e32 v69, v58, v71
	;; [unrolled: 6-line block ×3, first 2 shown]
	v_fma_f32 v76, v52, v64, -v76
	v_fmac_f32_e32 v77, v53, v64
	v_fma_f32 v64, v54, v66, -v84
	v_fmac_f32_e32 v65, v55, v66
	;; [unrolled: 2-line block ×6, first 2 shown]
	ds_write2_b64 v45, v[76:77], v[64:65] offset0:12 offset1:152
	ds_write2_b64 v82, v[66:67], v[68:69] offset0:36 offset1:176
	ds_write2_b64 v83, v[70:71], v[72:73] offset0:60 offset1:200
.LBB0_17:
	s_or_b64 exec, exec, s[0:1]
	s_waitcnt lgkmcnt(0)
	s_barrier
	s_and_saveexec_b64 s[0:1], s[8:9]
	s_cbranch_execz .LBB0_19
; %bb.18:
	v_add_u32_e32 v28, 0x800, v44
	ds_read2_b64 v[36:39], v28 offset0:24 offset1:164
	v_add_u32_e32 v28, 0x1000, v44
	ds_read2_b64 v[32:35], v44 offset1:140
	ds_read2_b64 v[40:43], v28 offset0:48 offset1:188
	ds_read_b64 v[28:29], v44 offset:6720
.LBB0_19:
	s_or_b64 exec, exec, s[0:1]
	s_waitcnt lgkmcnt(0)
	v_pk_add_f32 v[62:63], v[34:35], v[28:29]
	v_pk_add_f32 v[64:65], v[34:35], v[28:29] neg_lo:[0,1] neg_hi:[0,1]
	v_mov_b32_e32 v86, v28
	v_mov_b32_e32 v88, v34
	;; [unrolled: 1-line block ×4, first 2 shown]
	v_pk_add_f32 v[66:67], v[36:37], v[42:43]
	v_pk_add_f32 v[36:37], v[36:37], v[42:43] neg_lo:[0,1] neg_hi:[0,1]
	v_mov_b32_e32 v87, v38
	v_mov_b32_e32 v89, v40
	v_pk_add_f32 v[28:29], v[34:35], v[28:29] neg_lo:[0,1] neg_hi:[0,1]
	v_pk_add_f32 v[72:73], v[40:41], v[38:39]
	v_pk_add_f32 v[74:75], v[40:41], v[38:39] neg_lo:[0,1] neg_hi:[0,1]
	v_pk_add_f32 v[86:87], v[86:87], v[88:89]
	v_mov_b32_e32 v38, v37
	v_mov_b32_e32 v39, v28
	;; [unrolled: 1-line block ×6, first 2 shown]
	s_mov_b32 s10, 0xbeae86e6
	v_pk_add_f32 v[88:89], v[28:29], v[38:39] neg_lo:[0,1] neg_hi:[0,1]
	v_mov_b32_e32 v38, v86
	v_mov_b32_e32 v39, v64
	s_mov_b32 s24, 0x3f3bfb3b
	v_mov_b32_e32 v70, v37
	v_mov_b32_e32 v71, v67
	v_pk_add_f32 v[76:77], v[66:67], v[62:63]
	v_add_f32_e32 v36, v74, v36
	v_pk_add_f32 v[82:83], v[64:65], v[74:75] neg_lo:[0,1] neg_hi:[0,1]
	s_mov_b32 s11, 0x3f4a47b2
	v_pk_add_f32 v[38:39], v[68:69], v[38:39] neg_lo:[0,1] neg_hi:[0,1]
	s_mov_b32 s25, 0xbf5ff5aa
	v_mov_b32_e32 v62, v29
	v_add_f32_e32 v36, v36, v64
	v_pk_mul_f32 v[84:85], v[82:83], s[10:11]
	v_pk_add_f32 v[34:35], v[66:67], v[86:87]
	s_mov_b32 s22, 0x3f08b237
	v_pk_mul_f32 v[40:41], v[38:39], s[24:25]
	v_pk_add_f32 v[38:39], v[70:71], v[62:63] neg_lo:[0,1] neg_hi:[0,1]
	v_mov_b32_e32 v62, v87
	v_mov_b32_e32 v63, v74
	s_mov_b32 s0, 0x3d64c772
	v_mul_f32_e32 v43, 0xbee1c552, v36
	v_mov_b32_e32 v36, v87
	v_mov_b32_e32 v35, v34
	v_pk_add_f32 v[64:65], v[62:63], v[68:69] neg_lo:[0,1] neg_hi:[0,1]
	s_mov_b32 s1, s22
	v_mov_b32_e32 v45, v84
	v_mov_b32_e32 v72, v28
	v_mov_b32_e32 v76, v37
	v_sub_f32_e32 v42, v73, v67
	v_pk_add_f32 v[66:67], v[86:87], v[36:37] neg_lo:[0,1] neg_hi:[0,1]
	v_pk_add_f32 v[90:91], v[86:87], v[34:35]
	s_mov_b32 s21, 0x3f955555
	s_mov_b32 s20, s11
	v_pk_mul_f32 v[62:63], v[64:65], s[0:1]
	v_pk_fma_f32 v[64:65], v[64:65], s[0:1], v[44:45]
	v_pk_add_f32 v[36:37], v[72:73], v[76:77]
	v_mov_b32_e32 v28, v29
	v_mov_b32_e32 v71, v65
	v_pk_add_f32 v[28:29], v[36:37], v[28:29]
	v_pk_mul_f32 v[64:65], v[36:37], s[20:21]
	v_mov_b32_e32 v36, v91
	v_mov_b32_e32 v29, v65
	v_pk_add_f32 v[64:65], v[32:33], v[36:37]
	v_mul_f32_e32 v61, 0x3d64c772, v42
	v_xor_b32_e32 v60, 0x80000000, v41
	s_mov_b32 s26, s25
	s_mov_b32 s27, s24
	v_mov_b32_e32 v36, 0xbee1c552
	v_mov_b32_e32 v37, v65
	s_mov_b32 s23, s10
	v_pk_mul_f32 v[38:39], v[38:39], s[26:27]
	v_pk_fma_f32 v[68:69], v[82:83], s[10:11], v[60:61]
	v_pk_fma_f32 v[74:75], v[82:83], s[10:11], v[60:61] neg_lo:[1,0,0] neg_hi:[1,0,0]
	v_pk_add_f32 v[72:73], v[36:37], v[28:29] neg_lo:[0,1] neg_hi:[0,1]
	v_pk_mul_f32 v[34:35], v[88:89], s[22:23]
	v_sub_f32_e64 v70, -v85, v39
	v_mov_b32_e32 v75, v69
	v_mov_b32_e32 v42, v73
	;; [unrolled: 1-line block ×4, first 2 shown]
	v_pk_mul_f32 v[32:33], v[36:37], v[28:29]
	v_pk_add_f32 v[68:69], v[42:43], v[70:71]
	v_pk_add_f32 v[70:71], v[74:75], v[72:73]
	v_mov_b32_e32 v28, v62
	v_mov_b32_e32 v29, v64
	v_xor_b32_e32 v75, 0x80000000, v38
	v_mov_b32_e32 v74, v35
	v_pk_mul_f32 v[92:93], v[66:67], s[20:21]
	v_pk_fma_f32 v[36:37], v[66:67], s[20:21], v[62:63]
	v_pk_fma_f32 v[28:29], v[66:67], s[20:21], v[28:29] neg_lo:[1,0,0] neg_hi:[1,0,0]
	v_pk_fma_f32 v[76:77], v[88:89], s[22:23], v[74:75]
	v_pk_fma_f32 v[74:75], v[88:89], s[22:23], v[74:75] neg_lo:[1,0,0] neg_hi:[1,0,0]
	v_mov_b32_e32 v37, v29
	v_sub_f32_e64 v67, -v92, v40
	v_mov_b32_e32 v77, v75
	v_mov_b32_e32 v66, v29
	v_pk_add_f32 v[74:75], v[36:37], v[66:67]
	v_pk_add_f32 v[76:77], v[32:33], v[76:77] op_sel_hi:[0,1]
	v_mov_b32_e32 v52, v2
	v_mov_b32_e32 v53, v2
	v_mov_b32_e32 v2, v3
	v_mov_b32_e32 v58, v4
	v_mov_b32_e32 v59, v4
	v_mov_b32_e32 v4, v5
	v_mov_b32_e32 v56, v6
	v_mov_b32_e32 v57, v6
	v_mov_b32_e32 v6, v7
	v_mov_b32_e32 v54, v0
	v_mov_b32_e32 v55, v0
	v_mov_b32_e32 v0, v1
	v_pk_add_f32 v[28:29], v[74:75], v[76:77] neg_lo:[0,1] neg_hi:[0,1]
	v_pk_add_f32 v[36:37], v[70:71], v[68:69]
	s_barrier
	s_and_saveexec_b64 s[0:1], s[8:9]
	s_cbranch_execz .LBB0_21
; %bb.20:
	v_mov_b32_e32 v35, v61
	v_mov_b32_e32 v33, v73
	v_pk_add_f32 v[40:41], v[40:41], v[62:63] neg_lo:[0,1] neg_hi:[0,1]
	v_pk_add_f32 v[62:63], v[74:75], v[76:77]
	v_pk_add_f32 v[72:73], v[70:71], v[68:69] neg_lo:[0,1] neg_hi:[0,1]
	v_pk_add_f32 v[34:35], v[38:39], v[34:35] neg_lo:[0,1] neg_hi:[0,1]
	v_mov_b32_e32 v67, v43
	v_lshlrev_b32_e32 v42, 3, v80
	v_mov_b32_e32 v63, v73
	v_pk_add_f32 v[32:33], v[32:33], v[34:35]
	v_pk_add_f32 v[34:35], v[40:41], v[66:67]
	ds_write2_b64 v42, v[64:65], v[62:63] offset1:1
	v_mov_b32_e32 v62, v77
	v_mov_b32_e32 v63, v68
	;; [unrolled: 1-line block ×4, first 2 shown]
	v_pk_add_f32 v[38:39], v[34:35], v[32:33] neg_lo:[0,1] neg_hi:[0,1]
	v_pk_add_f32 v[40:41], v[34:35], v[32:33]
	v_pk_add_f32 v[32:33], v[32:33], v[34:35] neg_lo:[0,1] neg_hi:[0,1]
	v_pk_add_f32 v[68:69], v[62:63], v[64:65]
	v_pk_add_f32 v[62:63], v[62:63], v[64:65] neg_lo:[0,1] neg_hi:[0,1]
	v_mov_b32_e32 v39, v41
	v_mov_b32_e32 v41, v33
	;; [unrolled: 1-line block ×5, first 2 shown]
	ds_write2_b64 v42, v[40:41], v[32:33] offset0:4 offset1:5
	v_mov_b32_e32 v32, v28
	v_mov_b32_e32 v33, v37
	ds_write2_b64 v42, v[68:69], v[38:39] offset0:2 offset1:3
	ds_write_b64 v42, v[32:33] offset:48
.LBB0_21:
	s_or_b64 exec, exec, s[0:1]
	s_waitcnt lgkmcnt(0)
	s_barrier
	ds_read2_b64 v[32:35], v44 offset1:196
	v_add_u32_e32 v38, 0xc00, v44
	ds_read2_b64 v[38:41], v38 offset0:8 offset1:204
	ds_read_b64 v[42:43], v44 offset:6272
	s_mov_b32 s0, 0x3f737871
	s_mov_b32 s10, 0x3f167918
	s_waitcnt lgkmcnt(2)
	v_pk_mul_f32 v[4:5], v[4:5], v[34:35]
	s_waitcnt lgkmcnt(1)
	v_pk_mul_f32 v[0:1], v[0:1], v[40:41]
	v_pk_fma_f32 v[60:61], v[58:59], v[34:35], v[4:5] op_sel:[0,0,1] op_sel_hi:[1,1,0]
	v_pk_fma_f32 v[4:5], v[58:59], v[34:35], v[4:5] op_sel:[0,0,1] op_sel_hi:[1,1,0] neg_lo:[0,0,1] neg_hi:[0,0,1]
	s_mov_b32 s20, 0x3e9e377a
	v_mov_b32_e32 v61, v5
	v_pk_mul_f32 v[4:5], v[6:7], v[38:39]
	s_waitcnt lgkmcnt(0)
	v_pk_fma_f32 v[6:7], v[56:57], v[38:39], v[4:5] op_sel:[0,0,1] op_sel_hi:[1,1,0]
	v_pk_fma_f32 v[4:5], v[56:57], v[38:39], v[4:5] op_sel:[0,0,1] op_sel_hi:[1,1,0] neg_lo:[0,0,1] neg_hi:[0,0,1]
	s_barrier
	v_mov_b32_e32 v7, v5
	v_pk_fma_f32 v[4:5], v[54:55], v[40:41], v[0:1] op_sel:[0,0,1] op_sel_hi:[1,1,0]
	v_pk_fma_f32 v[0:1], v[54:55], v[40:41], v[0:1] op_sel:[0,0,1] op_sel_hi:[1,1,0] neg_lo:[0,0,1] neg_hi:[0,0,1]
	s_nop 0
	v_mov_b32_e32 v5, v1
	v_pk_mul_f32 v[0:1], v[2:3], v[42:43]
	v_pk_add_f32 v[38:39], v[6:7], v[4:5] neg_lo:[0,1] neg_hi:[0,1]
	v_pk_fma_f32 v[2:3], v[52:53], v[42:43], v[0:1] op_sel:[0,0,1] op_sel_hi:[1,1,0]
	v_pk_fma_f32 v[0:1], v[52:53], v[42:43], v[0:1] op_sel:[0,0,1] op_sel_hi:[1,1,0] neg_lo:[0,0,1] neg_hi:[0,0,1]
	v_pk_add_f32 v[52:53], v[6:7], v[4:5]
	v_mov_b32_e32 v3, v1
	v_pk_add_f32 v[0:1], v[60:61], v[2:3]
	v_pk_add_f32 v[42:43], v[4:5], v[2:3] neg_lo:[0,1] neg_hi:[0,1]
	v_pk_fma_f32 v[40:41], v[0:1], 0.5, v[32:33] op_sel_hi:[1,0,1] neg_lo:[1,0,0] neg_hi:[1,0,0]
	v_pk_add_f32 v[0:1], v[6:7], v[60:61] neg_lo:[0,1] neg_hi:[0,1]
	v_pk_add_f32 v[34:35], v[60:61], v[2:3] neg_lo:[0,1] neg_hi:[0,1]
	v_pk_add_f32 v[42:43], v[0:1], v[42:43]
	v_pk_add_f32 v[0:1], v[32:33], v[60:61]
	v_pk_fma_f32 v[32:33], v[52:53], 0.5, v[32:33] op_sel_hi:[1,0,1] neg_lo:[1,0,0] neg_hi:[1,0,0]
	v_pk_add_f32 v[0:1], v[0:1], v[6:7]
	v_pk_add_f32 v[6:7], v[60:61], v[6:7] neg_lo:[0,1] neg_hi:[0,1]
	v_pk_add_f32 v[0:1], v[0:1], v[4:5]
	s_nop 0
	v_pk_add_f32 v[0:1], v[0:1], v[2:3]
	v_pk_add_f32 v[2:3], v[2:3], v[4:5] neg_lo:[0,1] neg_hi:[0,1]
	s_nop 0
	v_pk_add_f32 v[4:5], v[6:7], v[2:3]
	v_pk_fma_f32 v[2:3], v[34:35], s[0:1], v[32:33] op_sel:[1,0,0] op_sel_hi:[0,0,1] neg_lo:[1,0,0] neg_hi:[1,0,0]
	v_pk_fma_f32 v[6:7], v[34:35], s[0:1], v[32:33] op_sel:[1,0,0] op_sel_hi:[0,0,1]
	v_pk_fma_f32 v[6:7], v[38:39], s[10:11], v[6:7] op_sel:[1,0,0] op_sel_hi:[0,0,1]
	v_pk_fma_f32 v[32:33], v[38:39], s[10:11], v[2:3] op_sel:[1,0,0] op_sel_hi:[0,0,1] neg_lo:[1,0,0] neg_hi:[1,0,0]
	v_mov_b32_e32 v2, v32
	v_mov_b32_e32 v3, v7
	;; [unrolled: 1-line block ×3, first 2 shown]
	v_pk_fma_f32 v[2:3], v[4:5], s[20:21], v[2:3] op_sel_hi:[1,0,1]
	v_pk_fma_f32 v[4:5], v[4:5], s[20:21], v[6:7] op_sel_hi:[1,0,1]
	v_pk_fma_f32 v[6:7], v[38:39], s[0:1], v[40:41] op_sel:[1,0,0] op_sel_hi:[0,0,1]
	v_pk_fma_f32 v[32:33], v[38:39], s[0:1], v[40:41] op_sel:[1,0,0] op_sel_hi:[0,0,1] neg_lo:[1,0,0] neg_hi:[1,0,0]
	v_pk_fma_f32 v[38:39], v[34:35], s[10:11], v[32:33] op_sel:[1,0,0] op_sel_hi:[0,0,1]
	v_pk_fma_f32 v[6:7], v[34:35], s[10:11], v[6:7] op_sel:[1,0,0] op_sel_hi:[0,0,1] neg_lo:[1,0,0] neg_hi:[1,0,0]
	v_mov_b32_e32 v32, v6
	v_mov_b32_e32 v33, v39
	;; [unrolled: 1-line block ×3, first 2 shown]
	v_pk_fma_f32 v[32:33], v[42:43], s[20:21], v[32:33] op_sel_hi:[1,0,1]
	v_pk_fma_f32 v[34:35], v[42:43], s[20:21], v[38:39] op_sel_hi:[1,0,1]
	ds_write2_b64 v81, v[0:1], v[2:3] offset1:7
	ds_write2_b64 v81, v[32:33], v[34:35] offset0:14 offset1:21
	ds_write_b64 v81, v[4:5] offset:224
	s_waitcnt lgkmcnt(0)
	s_barrier
	s_and_saveexec_b64 s[0:1], s[2:3]
	s_xor_b64 s[0:1], exec, s[0:1]
	s_andn2_saveexec_b64 s[0:1], s[0:1]
	s_cbranch_execz .LBB0_23
; %bb.22:
	v_add_u32_e32 v4, 0x1000, v44
	ds_read2_b64 v[0:3], v44 offset1:140
	ds_read2_b64 v[4:7], v4 offset0:48 offset1:188
	ds_read_b64 v[28:29], v44 offset:6720
	v_add_u32_e32 v32, 0x800, v44
	ds_read2_b64 v[32:35], v32 offset0:24 offset1:164
	s_waitcnt lgkmcnt(2)
	v_mov_b32_e32 v36, v7
	s_waitcnt lgkmcnt(1)
	v_mov_b32_e32 v37, v29
	v_mov_b32_e32 v29, v6
.LBB0_23:
	s_or_b64 exec, exec, s[0:1]
	v_pk_mul_f32 v[6:7], v[16:17], v[2:3]
	v_mov_b32_e32 v40, v17
	v_mov_b32_e32 v6, v7
	v_pk_fma_f32 v[6:7], v[16:17], v[2:3], v[6:7]
	v_mov_b32_e32 v38, v3
	v_pk_mul_f32 v[2:3], v[40:41], v[2:3]
	v_mov_b32_e32 v40, v19
	v_pk_fma_f32 v[2:3], v[16:17], v[38:39], v[2:3] neg_lo:[0,0,1] neg_hi:[0,0,1]
	s_waitcnt lgkmcnt(0)
	v_pk_mul_f32 v[16:17], v[18:19], v[32:33]
	v_mov_b32_e32 v38, v33
	v_mov_b32_e32 v16, v17
	v_pk_fma_f32 v[16:17], v[18:19], v[32:33], v[16:17]
	v_pk_mul_f32 v[32:33], v[40:41], v[32:33]
	v_mov_b32_e32 v40, v13
	v_pk_fma_f32 v[18:19], v[18:19], v[38:39], v[32:33] neg_lo:[0,0,1] neg_hi:[0,0,1]
	v_pk_mul_f32 v[32:33], v[12:13], v[34:35]
	v_mov_b32_e32 v38, v35
	v_mov_b32_e32 v32, v33
	v_pk_fma_f32 v[32:33], v[12:13], v[34:35], v[32:33]
	v_pk_mul_f32 v[34:35], v[40:41], v[34:35]
	v_mov_b32_e32 v40, v15
	v_pk_fma_f32 v[12:13], v[12:13], v[38:39], v[34:35] neg_lo:[0,0,1] neg_hi:[0,0,1]
	;; [unrolled: 7-line block ×3, first 2 shown]
	v_mov_b32_e32 v38, v9
	v_mov_b32_e32 v14, v29
	v_pk_mul_f32 v[38:39], v[38:39], v[36:37]
	v_mov_b32_e32 v17, v18
	v_pk_fma_f32 v[14:15], v[8:9], v[14:15], v[38:39]
	v_pk_mul_f32 v[38:39], v[8:9], v[36:37]
	v_mov_b32_e32 v33, v12
	v_mov_b32_e32 v3, v38
	v_pk_fma_f32 v[8:9], v[8:9], v[28:29], v[2:3] neg_lo:[1,0,0] neg_hi:[1,0,0]
	v_pk_mul_f32 v[38:39], v[10:11], v[36:37]
	v_mov_b32_e32 v36, v11
	v_mov_b32_e32 v8, v39
	v_pk_fma_f32 v[38:39], v[10:11], v[28:29], v[8:9]
	v_mov_b32_e32 v8, v37
	v_pk_mul_f32 v[28:29], v[36:37], v[28:29]
	v_mov_b32_e32 v15, v9
	v_pk_fma_f32 v[10:11], v[10:11], v[8:9], v[28:29] neg_lo:[0,0,1] neg_hi:[0,0,1]
	v_pk_add_f32 v[8:9], v[14:15], v[16:17]
	v_mov_b32_e32 v39, v10
	v_pk_add_f32 v[2:3], v[38:39], v[6:7]
	v_mov_b32_e32 v35, v4
	v_pk_add_f32 v[10:11], v[16:17], v[14:15] neg_lo:[0,1] neg_hi:[0,1]
	v_pk_add_f32 v[4:5], v[32:33], v[34:35]
	v_pk_add_f32 v[14:15], v[8:9], v[2:3]
	v_pk_add_f32 v[12:13], v[34:35], v[32:33] neg_lo:[0,1] neg_hi:[0,1]
	v_pk_add_f32 v[16:17], v[8:9], v[2:3] neg_lo:[0,1] neg_hi:[0,1]
	;; [unrolled: 1-line block ×4, first 2 shown]
	v_mov_b32_e32 v32, v14
	v_mov_b32_e32 v33, v5
	;; [unrolled: 1-line block ×3, first 2 shown]
	v_pk_add_f32 v[6:7], v[6:7], v[38:39] neg_lo:[0,1] neg_hi:[0,1]
	v_pk_add_f32 v[2:3], v[12:13], v[10:11] op_sel:[1,1] op_sel_hi:[0,0]
	v_pk_add_f32 v[4:5], v[32:33], v[4:5]
	s_mov_b32 s2, 0x3d64c772
	v_pk_add_f32 v[28:29], v[12:13], v[10:11] op_sel:[1,1] op_sel_hi:[0,0] neg_lo:[0,1] neg_hi:[0,1]
	v_pk_add_f32 v[12:13], v[6:7], v[12:13] op_sel:[1,1] op_sel_hi:[0,0] neg_lo:[0,1] neg_hi:[0,1]
	;; [unrolled: 1-line block ×3, first 2 shown]
	v_pk_add_f32 v[6:7], v[2:3], v[6:7] op_sel:[0,1] op_sel_hi:[1,0]
	v_pk_add_f32 v[2:3], v[0:1], v[4:5]
	s_mov_b32 s0, 0xbf955555
	v_pk_mul_f32 v[0:1], v[8:9], s[2:3] op_sel_hi:[1,0]
	s_mov_b32 s2, 0x3f3bfb3b
	s_mov_b32 s20, 0x3f08b237
	v_pk_mul_f32 v[8:9], v[16:17], s[2:3] op_sel_hi:[1,0]
	v_pk_mul_f32 v[28:29], v[28:29], s[20:21] op_sel_hi:[1,0]
	s_mov_b32 s20, 0xbf5ff5aa
	v_pk_fma_f32 v[34:35], v[4:5], s[0:1], v[2:3] op_sel_hi:[1,0,1]
	s_mov_b32 s0, 0xbf4a47b2
	s_mov_b32 s10, 0xbee1c552
	v_pk_mul_f32 v[14:15], v[10:11], s[20:21] op_sel_hi:[1,0]
	v_pk_fma_f32 v[4:5], v[16:17], s[2:3], v[0:1] op_sel_hi:[1,0,1] neg_lo:[0,0,1] neg_hi:[0,0,1]
	v_fmac_f32_e32 v1, 0x3f4a47b2, v19
	v_fma_f32 v37, v18, s0, -v8
	v_fma_f32 v9, v19, s0, -v9
	v_pk_fma_f32 v[10:11], v[10:11], s[20:21], v[28:29] op_sel_hi:[1,0,1] neg_lo:[0,0,1] neg_hi:[0,0,1]
	s_mov_b32 s0, 0x3eae86e6
	v_pk_mul_f32 v[32:33], v[6:7], s[10:11] op_sel_hi:[1,0]
	v_fmamk_f32 v36, v18, 0x3f4a47b2, v0
	v_fmamk_f32 v16, v13, 0xbeae86e6, v29
	v_fmac_f32_e32 v28, 0xbeae86e6, v12
	v_fma_f32 v17, v13, s0, -v15
	v_fma_f32 v29, v12, s0, -v14
	v_pk_add_f32 v[12:13], v[4:5], v[34:35]
	v_pk_fma_f32 v[10:11], v[6:7], s[10:11], v[10:11] op_sel_hi:[1,0,1]
	v_mov_b32_e32 v8, v1
	v_pk_add_f32 v[4:5], v[8:9], v[34:35] op_sel:[0,1]
	v_pk_add_f32 v[6:7], v[32:33], v[16:17] op_sel:[1,0]
	v_pk_add_f32 v[14:15], v[36:37], v[34:35] op_sel_hi:[1,0]
	v_pk_add_f32 v[16:17], v[32:33], v[28:29] op_sel_hi:[0,1]
	v_pk_add_f32 v[8:9], v[12:13], v[10:11]
	v_pk_add_f32 v[10:11], v[12:13], v[10:11] neg_lo:[0,1] neg_hi:[0,1]
	v_mov_b32_e32 v0, v8
	v_mov_b32_e32 v1, v11
	v_pk_add_f32 v[28:29], v[14:15], v[16:17] neg_lo:[0,1] neg_hi:[0,1]
	v_pk_add_f32 v[12:13], v[6:7], v[4:5]
	s_barrier
	s_and_saveexec_b64 s[0:1], s[8:9]
	s_cbranch_execz .LBB0_25
; %bb.24:
	v_mov_b32_e32 v11, v4
	v_mov_b32_e32 v18, v14
	;; [unrolled: 1-line block ×3, first 2 shown]
	v_mul_u32_u24_e32 v8, 0xf5, v78
	v_pk_add_f32 v[32:33], v[16:17], v[14:15]
	v_pk_add_f32 v[18:19], v[10:11], v[18:19] neg_lo:[0,1] neg_hi:[0,1]
	v_add_lshl_u32 v34, v8, v79, 3
	v_mov_b32_e32 v33, v19
	ds_write2_b64 v34, v[2:3], v[32:33] offset1:35
	v_mov_b32_e32 v2, v17
	v_mov_b32_e32 v8, v15
	v_pk_add_f32 v[2:3], v[2:3], v[8:9]
	v_pk_add_f32 v[4:5], v[4:5], v[6:7] neg_lo:[0,1] neg_hi:[0,1]
	v_mov_b32_e32 v11, v9
	v_mov_b32_e32 v3, v5
	ds_write2_b64 v34, v[2:3], v[10:11] offset0:70 offset1:105
	v_mov_b32_e32 v2, v29
	v_mov_b32_e32 v3, v13
	ds_write2_b64 v34, v[0:1], v[2:3] offset0:140 offset1:175
	v_mov_b32_e32 v2, v28
	v_mov_b32_e32 v3, v12
	ds_write_b64 v34, v[2:3] offset:1680
.LBB0_25:
	s_or_b64 exec, exec, s[0:1]
	v_add_u32_e32 v2, 0xf00, v44
	s_waitcnt lgkmcnt(0)
	s_barrier
	ds_read2_b64 v[4:7], v44 offset1:245
	ds_read2_b64 v[8:11], v2 offset0:10 offset1:255
	s_and_saveexec_b64 s[0:1], s[6:7]
	s_xor_b64 s[0:1], exec, s[0:1]
	s_or_saveexec_b64 s[0:1], s[0:1]
	v_mov_b32_e32 v14, v24
	v_mov_b32_e32 v15, v24
	;; [unrolled: 1-line block ×3, first 2 shown]
	s_xor_b64 exec, exec, s[0:1]
	s_cbranch_execz .LBB0_27
; %bb.26:
	v_add_u32_e32 v0, 0x600, v44
	v_add_u32_e32 v1, 0x1540, v44
	ds_read2_b64 v[28:31], v1 offset0:6 offset1:251
	ds_read2_b64 v[0:3], v0 offset0:4 offset1:249
	s_waitcnt lgkmcnt(1)
	v_mov_b32_e32 v12, v29
	s_waitcnt lgkmcnt(0)
	v_mov_b32_e32 v13, v3
	v_mov_b32_e32 v29, v2
.LBB0_27:
	s_or_b64 exec, exec, s[0:1]
	s_waitcnt lgkmcnt(1)
	v_pk_mul_f32 v[2:3], v[24:25], v[6:7]
	s_waitcnt lgkmcnt(0)
	v_pk_mul_f32 v[16:17], v[26:27], v[8:9] op_sel:[1,0]
	v_pk_fma_f32 v[24:25], v[14:15], v[6:7], v[2:3] op_sel:[0,0,1] op_sel_hi:[1,1,0]
	v_pk_fma_f32 v[2:3], v[14:15], v[6:7], v[2:3] op_sel:[0,0,1] op_sel_hi:[1,1,0] neg_lo:[0,0,1] neg_hi:[0,0,1]
	v_pk_mul_f32 v[18:19], v[50:51], v[10:11] op_sel:[1,0]
	v_mov_b32_e32 v25, v3
	v_pk_fma_f32 v[2:3], v[26:27], v[8:9], v[16:17] op_sel:[0,0,1] op_sel_hi:[1,1,0]
	v_pk_fma_f32 v[6:7], v[26:27], v[8:9], v[16:17] op_sel:[0,0,1] op_sel_hi:[0,1,0] neg_lo:[0,0,1] neg_hi:[0,0,1]
	v_mov_b32_e32 v3, v7
	v_pk_fma_f32 v[6:7], v[50:51], v[10:11], v[18:19] op_sel:[0,0,1] op_sel_hi:[1,1,0]
	v_pk_fma_f32 v[8:9], v[50:51], v[10:11], v[18:19] op_sel:[0,0,1] op_sel_hi:[0,1,0] neg_lo:[0,0,1] neg_hi:[0,0,1]
	v_mov_b32_e32 v7, v9
	v_pk_add_f32 v[2:3], v[4:5], v[2:3] neg_lo:[0,1] neg_hi:[0,1]
	v_pk_add_f32 v[6:7], v[24:25], v[6:7] neg_lo:[0,1] neg_hi:[0,1]
	v_pk_fma_f32 v[4:5], v[4:5], 2.0, v[2:3] op_sel_hi:[1,0,1] neg_lo:[0,0,1] neg_hi:[0,0,1]
	v_pk_fma_f32 v[8:9], v[24:25], 2.0, v[6:7] op_sel_hi:[1,0,1] neg_lo:[0,0,1] neg_hi:[0,0,1]
	v_pk_add_f32 v[10:11], v[2:3], v[6:7] op_sel:[0,1] op_sel_hi:[1,0]
	v_pk_add_f32 v[6:7], v[2:3], v[6:7] op_sel:[0,1] op_sel_hi:[1,0] neg_lo:[0,1] neg_hi:[0,1]
	v_pk_add_f32 v[8:9], v[4:5], v[8:9] neg_lo:[0,1] neg_hi:[0,1]
	v_mov_b32_e32 v11, v7
	v_pk_fma_f32 v[4:5], v[4:5], 2.0, v[8:9] op_sel_hi:[1,0,1] neg_lo:[0,0,1] neg_hi:[0,0,1]
	v_pk_fma_f32 v[2:3], v[2:3], 2.0, v[10:11] op_sel_hi:[1,0,1] neg_lo:[0,0,1] neg_hi:[0,0,1]
	ds_write2_b64 v44, v[4:5], v[2:3] offset1:245
	v_add_u32_e32 v2, 0xf00, v44
	ds_write2_b64 v2, v[8:9], v[10:11] offset0:10 offset1:255
	s_and_saveexec_b64 s[0:1], s[4:5]
	s_cbranch_execz .LBB0_29
; %bb.28:
	v_pk_mul_f32 v[2:3], v[22:23], v[12:13] op_sel_hi:[1,0]
	v_pk_mul_f32 v[4:5], v[20:21], v[12:13] op_sel:[0,1]
	v_pk_fma_f32 v[8:9], v[22:23], v[28:29], v[2:3] op_sel:[0,0,1] op_sel_hi:[1,1,0]
	v_pk_fma_f32 v[2:3], v[22:23], v[28:29], v[2:3] op_sel:[0,0,1] op_sel_hi:[1,0,0] neg_lo:[1,0,0] neg_hi:[1,0,0]
	v_mov_b32_e32 v6, v31
	v_mov_b32_e32 v9, v3
	v_pk_mul_f32 v[6:7], v[48:49], v[6:7] op_sel_hi:[1,0]
	v_pk_add_f32 v[2:3], v[0:1], v[8:9] neg_lo:[0,1] neg_hi:[0,1]
	v_pk_fma_f32 v[8:9], v[20:21], v[28:29], v[4:5] op_sel:[0,1,1] op_sel_hi:[1,1,0]
	v_pk_fma_f32 v[4:5], v[20:21], v[28:29], v[4:5] op_sel:[0,1,1] op_sel_hi:[1,1,0] neg_lo:[1,0,0] neg_hi:[1,0,0]
	v_pk_fma_f32 v[0:1], v[0:1], 2.0, v[2:3] op_sel_hi:[1,0,1] neg_lo:[0,0,1] neg_hi:[0,0,1]
	v_mov_b32_e32 v9, v5
	v_pk_fma_f32 v[4:5], v[48:49], v[30:31], v[6:7] op_sel:[0,0,1] op_sel_hi:[1,1,0]
	v_pk_fma_f32 v[6:7], v[48:49], v[30:31], v[6:7] op_sel:[0,0,1] op_sel_hi:[1,0,0] neg_lo:[1,0,0] neg_hi:[1,0,0]
	s_nop 0
	v_mov_b32_e32 v5, v7
	v_pk_add_f32 v[4:5], v[8:9], v[4:5] neg_lo:[0,1] neg_hi:[0,1]
	s_nop 0
	v_pk_fma_f32 v[6:7], v[8:9], 2.0, v[4:5] op_sel_hi:[1,0,1] neg_lo:[0,0,1] neg_hi:[0,0,1]
	v_pk_add_f32 v[8:9], v[2:3], v[4:5] op_sel:[0,1] op_sel_hi:[1,0]
	v_pk_add_f32 v[4:5], v[2:3], v[4:5] op_sel:[0,1] op_sel_hi:[1,0] neg_lo:[0,1] neg_hi:[0,1]
	v_pk_add_f32 v[6:7], v[0:1], v[6:7] neg_lo:[0,1] neg_hi:[0,1]
	v_mov_b32_e32 v9, v5
	v_pk_fma_f32 v[0:1], v[0:1], 2.0, v[6:7] op_sel_hi:[1,0,1] neg_lo:[0,0,1] neg_hi:[0,0,1]
	v_pk_fma_f32 v[2:3], v[2:3], 2.0, v[8:9] op_sel_hi:[1,0,1] neg_lo:[0,0,1] neg_hi:[0,0,1]
	v_add_u32_e32 v4, 0x600, v44
	ds_write2_b64 v4, v[0:1], v[2:3] offset0:4 offset1:249
	v_add_u32_e32 v0, 0x1540, v44
	ds_write2_b64 v0, v[6:7], v[8:9] offset0:6 offset1:251
.LBB0_29:
	s_or_b64 exec, exec, s[0:1]
	s_waitcnt lgkmcnt(0)
	s_barrier
	s_and_b64 exec, exec, s[8:9]
	s_cbranch_execz .LBB0_31
; %bb.30:
	global_load_dwordx2 v[8:9], v44, s[18:19]
	global_load_dwordx2 v[10:11], v44, s[18:19] offset:1120
	global_load_dwordx2 v[12:13], v44, s[18:19] offset:2240
	;; [unrolled: 1-line block ×3, first 2 shown]
	v_mov_b32_e32 v45, 0
	s_movk_i32 s0, 0x1000
	v_lshl_add_u64 v[0:1], s[18:19], 0, v[44:45]
	v_add_co_u32_e32 v18, vcc, s0, v0
	ds_read_b64 v[16:17], v44
	s_nop 0
	v_addc_co_u32_e32 v19, vcc, 0, v1, vcc
	global_load_dwordx2 v[20:21], v[18:19], off offset:384
	global_load_dwordx2 v[32:33], v[18:19], off offset:1504
	v_add_u32_e32 v0, 0x400, v44
	global_load_dwordx2 v[18:19], v[18:19], off offset:2624
	v_mad_u64_u32 v[24:25], s[0:1], s14, v46, 0
	v_add_u32_e32 v4, 0xc00, v44
	ds_read2_b64 v[0:3], v0 offset0:12 offset1:152
	v_mad_u64_u32 v[26:27], s[2:3], s12, v47, 0
	v_mov_b32_e32 v28, v25
	ds_read2_b64 v[4:7], v4 offset0:36 offset1:176
	v_mov_b32_e32 v30, v27
	v_mad_u64_u32 v[28:29], s[2:3], s15, v46, v[28:29]
	v_mov_b32_e32 v22, s16
	v_mov_b32_e32 v23, s17
	v_mad_u64_u32 v[30:31], s[2:3], s13, v47, v[30:31]
	v_mov_b32_e32 v25, v28
	v_mov_b32_e32 v27, v30
	v_lshl_add_u64 v[22:23], v[24:25], 3, v[22:23]
	s_mov_b32 s0, 0xec259dc8
	v_mov_b32_e32 v34, 0x460
	v_lshl_add_u64 v[22:23], v[26:27], 3, v[22:23]
	s_mov_b32 s1, 0x3f50b7e6
	s_mul_i32 s4, s13, 0x460
	v_mad_u64_u32 v[24:25], s[2:3], s12, v34, v[22:23]
	v_add_u32_e32 v25, s4, v25
	v_mad_u64_u32 v[26:27], s[2:3], s12, v34, v[24:25]
	v_add_u32_e32 v27, s4, v27
	s_waitcnt vmcnt(6) lgkmcnt(2)
	v_mul_f32_e32 v28, v17, v9
	v_mul_f32_e32 v9, v16, v9
	s_waitcnt vmcnt(5) lgkmcnt(1)
	v_mul_f32_e32 v29, v1, v11
	v_mul_f32_e32 v11, v0, v11
	s_waitcnt vmcnt(4)
	v_mul_f32_e32 v30, v3, v13
	v_mul_f32_e32 v13, v2, v13
	v_fmac_f32_e32 v28, v16, v8
	v_fma_f32 v8, v8, v17, -v9
	s_waitcnt vmcnt(3) lgkmcnt(0)
	v_mul_f32_e32 v31, v5, v15
	v_mul_f32_e32 v15, v4, v15
	v_fmac_f32_e32 v29, v0, v10
	v_fma_f32 v9, v10, v1, -v11
	v_fmac_f32_e32 v30, v2, v12
	v_fma_f32 v12, v12, v3, -v13
	v_cvt_f64_f32_e32 v[0:1], v28
	v_cvt_f64_f32_e32 v[2:3], v8
	v_fmac_f32_e32 v31, v4, v14
	v_fma_f32 v16, v14, v5, -v15
	v_cvt_f64_f32_e32 v[4:5], v29
	v_cvt_f64_f32_e32 v[8:9], v9
	;; [unrolled: 1-line block ×4, first 2 shown]
	v_mul_f64 v[0:1], v[0:1], s[0:1]
	v_mul_f64 v[2:3], v[2:3], s[0:1]
	v_cvt_f64_f32_e32 v[16:17], v16
	v_mul_f64 v[4:5], v[4:5], s[0:1]
	v_mul_f64 v[8:9], v[8:9], s[0:1]
	v_mul_f64 v[10:11], v[10:11], s[0:1]
	v_mul_f64 v[12:13], v[12:13], s[0:1]
	v_cvt_f32_f64_e32 v0, v[0:1]
	v_cvt_f32_f64_e32 v1, v[2:3]
	;; [unrolled: 1-line block ×6, first 2 shown]
	global_store_dwordx2 v[22:23], v[0:1], off
	global_store_dwordx2 v[24:25], v[2:3], off
	;; [unrolled: 1-line block ×3, first 2 shown]
	v_mul_f64 v[0:1], v[16:17], s[0:1]
	v_cvt_f32_f64_e32 v9, v[0:1]
	s_waitcnt vmcnt(5)
	v_mul_f32_e32 v0, v7, v21
	v_cvt_f64_f32_e32 v[14:15], v31
	v_fmac_f32_e32 v0, v6, v20
	v_mul_f64 v[14:15], v[14:15], s[0:1]
	v_mad_u64_u32 v[4:5], s[2:3], s12, v34, v[26:27]
	v_cvt_f64_f32_e32 v[0:1], v0
	v_cvt_f32_f64_e32 v8, v[14:15]
	v_add_u32_e32 v5, s4, v5
	v_mul_f64 v[0:1], v[0:1], s[0:1]
	global_store_dwordx2 v[4:5], v[8:9], off
	v_cvt_f32_f64_e32 v8, v[0:1]
	v_mul_f32_e32 v0, v6, v21
	v_fma_f32 v0, v20, v7, -v0
	v_cvt_f64_f32_e32 v[0:1], v0
	v_mul_f64 v[0:1], v[0:1], s[0:1]
	v_cvt_f32_f64_e32 v9, v[0:1]
	v_add_u32_e32 v0, 0x1400, v44
	ds_read2_b64 v[0:3], v0 offset0:60 offset1:200
	v_mad_u64_u32 v[4:5], s[2:3], s12, v34, v[4:5]
	v_add_u32_e32 v5, s4, v5
	global_store_dwordx2 v[4:5], v[8:9], off
	s_waitcnt vmcnt(6) lgkmcnt(0)
	v_mul_f32_e32 v6, v1, v33
	v_fmac_f32_e32 v6, v0, v32
	v_mul_f32_e32 v0, v0, v33
	v_fma_f32 v0, v32, v1, -v0
	v_cvt_f64_f32_e32 v[6:7], v6
	v_cvt_f64_f32_e32 v[0:1], v0
	v_mul_f64 v[6:7], v[6:7], s[0:1]
	v_mul_f64 v[0:1], v[0:1], s[0:1]
	v_cvt_f32_f64_e32 v6, v[6:7]
	v_cvt_f32_f64_e32 v7, v[0:1]
	v_mad_u64_u32 v[0:1], s[2:3], s12, v34, v[4:5]
	s_waitcnt vmcnt(5)
	v_mul_f32_e32 v4, v3, v19
	v_fmac_f32_e32 v4, v2, v18
	v_mul_f32_e32 v2, v2, v19
	v_fma_f32 v2, v18, v3, -v2
	v_add_u32_e32 v1, s4, v1
	v_cvt_f64_f32_e32 v[4:5], v4
	v_cvt_f64_f32_e32 v[2:3], v2
	global_store_dwordx2 v[0:1], v[6:7], off
	v_mul_f64 v[4:5], v[4:5], s[0:1]
	v_mul_f64 v[2:3], v[2:3], s[0:1]
	v_mad_u64_u32 v[0:1], s[0:1], s12, v34, v[0:1]
	v_cvt_f32_f64_e32 v4, v[4:5]
	v_cvt_f32_f64_e32 v5, v[2:3]
	v_add_u32_e32 v1, s4, v1
	global_store_dwordx2 v[0:1], v[4:5], off
.LBB0_31:
	s_endpgm
	.section	.rodata,"a",@progbits
	.p2align	6, 0x0
	.amdhsa_kernel bluestein_single_back_len980_dim1_sp_op_CI_CI
		.amdhsa_group_segment_fixed_size 7840
		.amdhsa_private_segment_fixed_size 0
		.amdhsa_kernarg_size 104
		.amdhsa_user_sgpr_count 2
		.amdhsa_user_sgpr_dispatch_ptr 0
		.amdhsa_user_sgpr_queue_ptr 0
		.amdhsa_user_sgpr_kernarg_segment_ptr 1
		.amdhsa_user_sgpr_dispatch_id 0
		.amdhsa_user_sgpr_kernarg_preload_length 0
		.amdhsa_user_sgpr_kernarg_preload_offset 0
		.amdhsa_user_sgpr_private_segment_size 0
		.amdhsa_uses_dynamic_stack 0
		.amdhsa_enable_private_segment 0
		.amdhsa_system_sgpr_workgroup_id_x 1
		.amdhsa_system_sgpr_workgroup_id_y 0
		.amdhsa_system_sgpr_workgroup_id_z 0
		.amdhsa_system_sgpr_workgroup_info 0
		.amdhsa_system_vgpr_workitem_id 0
		.amdhsa_next_free_vgpr 94
		.amdhsa_next_free_sgpr 28
		.amdhsa_accum_offset 96
		.amdhsa_reserve_vcc 1
		.amdhsa_float_round_mode_32 0
		.amdhsa_float_round_mode_16_64 0
		.amdhsa_float_denorm_mode_32 3
		.amdhsa_float_denorm_mode_16_64 3
		.amdhsa_dx10_clamp 1
		.amdhsa_ieee_mode 1
		.amdhsa_fp16_overflow 0
		.amdhsa_tg_split 0
		.amdhsa_exception_fp_ieee_invalid_op 0
		.amdhsa_exception_fp_denorm_src 0
		.amdhsa_exception_fp_ieee_div_zero 0
		.amdhsa_exception_fp_ieee_overflow 0
		.amdhsa_exception_fp_ieee_underflow 0
		.amdhsa_exception_fp_ieee_inexact 0
		.amdhsa_exception_int_div_zero 0
	.end_amdhsa_kernel
	.text
.Lfunc_end0:
	.size	bluestein_single_back_len980_dim1_sp_op_CI_CI, .Lfunc_end0-bluestein_single_back_len980_dim1_sp_op_CI_CI
                                        ; -- End function
	.section	.AMDGPU.csdata,"",@progbits
; Kernel info:
; codeLenInByte = 7516
; NumSgprs: 34
; NumVgprs: 94
; NumAgprs: 0
; TotalNumVgprs: 94
; ScratchSize: 0
; MemoryBound: 0
; FloatMode: 240
; IeeeMode: 1
; LDSByteSize: 7840 bytes/workgroup (compile time only)
; SGPRBlocks: 4
; VGPRBlocks: 11
; NumSGPRsForWavesPerEU: 34
; NumVGPRsForWavesPerEU: 94
; AccumOffset: 96
; Occupancy: 5
; WaveLimiterHint : 1
; COMPUTE_PGM_RSRC2:SCRATCH_EN: 0
; COMPUTE_PGM_RSRC2:USER_SGPR: 2
; COMPUTE_PGM_RSRC2:TRAP_HANDLER: 0
; COMPUTE_PGM_RSRC2:TGID_X_EN: 1
; COMPUTE_PGM_RSRC2:TGID_Y_EN: 0
; COMPUTE_PGM_RSRC2:TGID_Z_EN: 0
; COMPUTE_PGM_RSRC2:TIDIG_COMP_CNT: 0
; COMPUTE_PGM_RSRC3_GFX90A:ACCUM_OFFSET: 23
; COMPUTE_PGM_RSRC3_GFX90A:TG_SPLIT: 0
	.text
	.p2alignl 6, 3212836864
	.fill 256, 4, 3212836864
	.type	__hip_cuid_8e84ba73e29f9b55,@object ; @__hip_cuid_8e84ba73e29f9b55
	.section	.bss,"aw",@nobits
	.globl	__hip_cuid_8e84ba73e29f9b55
__hip_cuid_8e84ba73e29f9b55:
	.byte	0                               ; 0x0
	.size	__hip_cuid_8e84ba73e29f9b55, 1

	.ident	"AMD clang version 19.0.0git (https://github.com/RadeonOpenCompute/llvm-project roc-6.4.0 25133 c7fe45cf4b819c5991fe208aaa96edf142730f1d)"
	.section	".note.GNU-stack","",@progbits
	.addrsig
	.addrsig_sym __hip_cuid_8e84ba73e29f9b55
	.amdgpu_metadata
---
amdhsa.kernels:
  - .agpr_count:     0
    .args:
      - .actual_access:  read_only
        .address_space:  global
        .offset:         0
        .size:           8
        .value_kind:     global_buffer
      - .actual_access:  read_only
        .address_space:  global
        .offset:         8
        .size:           8
        .value_kind:     global_buffer
      - .actual_access:  read_only
        .address_space:  global
        .offset:         16
        .size:           8
        .value_kind:     global_buffer
      - .actual_access:  read_only
        .address_space:  global
        .offset:         24
        .size:           8
        .value_kind:     global_buffer
      - .actual_access:  read_only
        .address_space:  global
        .offset:         32
        .size:           8
        .value_kind:     global_buffer
      - .offset:         40
        .size:           8
        .value_kind:     by_value
      - .address_space:  global
        .offset:         48
        .size:           8
        .value_kind:     global_buffer
      - .address_space:  global
        .offset:         56
        .size:           8
        .value_kind:     global_buffer
      - .address_space:  global
        .offset:         64
        .size:           8
        .value_kind:     global_buffer
      - .address_space:  global
        .offset:         72
        .size:           8
        .value_kind:     global_buffer
      - .offset:         80
        .size:           4
        .value_kind:     by_value
      - .address_space:  global
        .offset:         88
        .size:           8
        .value_kind:     global_buffer
      - .address_space:  global
        .offset:         96
        .size:           8
        .value_kind:     global_buffer
    .group_segment_fixed_size: 7840
    .kernarg_segment_align: 8
    .kernarg_segment_size: 104
    .language:       OpenCL C
    .language_version:
      - 2
      - 0
    .max_flat_workgroup_size: 196
    .name:           bluestein_single_back_len980_dim1_sp_op_CI_CI
    .private_segment_fixed_size: 0
    .sgpr_count:     34
    .sgpr_spill_count: 0
    .symbol:         bluestein_single_back_len980_dim1_sp_op_CI_CI.kd
    .uniform_work_group_size: 1
    .uses_dynamic_stack: false
    .vgpr_count:     94
    .vgpr_spill_count: 0
    .wavefront_size: 64
amdhsa.target:   amdgcn-amd-amdhsa--gfx950
amdhsa.version:
  - 1
  - 2
...

	.end_amdgpu_metadata
